;; amdgpu-corpus repo=ROCm/rocFFT kind=compiled arch=gfx906 opt=O3
	.text
	.amdgcn_target "amdgcn-amd-amdhsa--gfx906"
	.amdhsa_code_object_version 6
	.protected	bluestein_single_back_len112_dim1_sp_op_CI_CI ; -- Begin function bluestein_single_back_len112_dim1_sp_op_CI_CI
	.globl	bluestein_single_back_len112_dim1_sp_op_CI_CI
	.p2align	8
	.type	bluestein_single_back_len112_dim1_sp_op_CI_CI,@function
bluestein_single_back_len112_dim1_sp_op_CI_CI: ; @bluestein_single_back_len112_dim1_sp_op_CI_CI
; %bb.0:
	s_load_dwordx4 s[0:3], s[4:5], 0x28
	v_lshrrev_b32_e32 v1, 4, v0
	v_lshl_or_b32 v44, s6, 4, v1
	v_mov_b32_e32 v45, 0
	s_waitcnt lgkmcnt(0)
	v_cmp_gt_u64_e32 vcc, s[0:1], v[44:45]
	s_and_saveexec_b64 s[0:1], vcc
	s_cbranch_execz .LBB0_15
; %bb.1:
	s_load_dwordx2 s[6:7], s[4:5], 0x0
	s_load_dwordx2 s[12:13], s[4:5], 0x38
	v_and_b32_e32 v47, 15, v0
	v_mul_u32_u24_e32 v48, 0x70, v1
	v_cmp_gt_u32_e32 vcc, 7, v47
	v_lshlrev_b32_e32 v45, 3, v47
	v_or_b32_e32 v32, v48, v47
	v_add_lshl_u32 v0, v48, v47, 3
	v_or_b32_e32 v46, 56, v47
	s_and_saveexec_b64 s[14:15], vcc
	s_cbranch_execz .LBB0_3
; %bb.2:
	s_load_dwordx2 s[0:1], s[4:5], 0x18
	v_mov_b32_e32 v40, 0x70
	v_lshl_add_u32 v43, v48, 3, v45
	s_waitcnt lgkmcnt(0)
	s_load_dwordx4 s[8:11], s[0:1], 0x0
	s_waitcnt lgkmcnt(0)
	v_mad_u64_u32 v[1:2], s[0:1], s10, v44, 0
	v_mad_u64_u32 v[3:4], s[0:1], s8, v47, 0
	;; [unrolled: 1-line block ×4, first 2 shown]
	v_mov_b32_e32 v2, v5
	v_lshlrev_b64 v[1:2], 3, v[1:2]
	v_mov_b32_e32 v4, v6
	v_mov_b32_e32 v7, s3
	v_lshlrev_b64 v[3:4], 3, v[3:4]
	v_add_co_u32_e64 v31, s[0:1], s2, v1
	v_addc_co_u32_e64 v39, s[0:1], v7, v2, s[0:1]
	v_add_co_u32_e64 v1, s[0:1], v31, v3
	v_addc_co_u32_e64 v2, s[0:1], v39, v4, s[0:1]
	s_mul_i32 s0, s9, 56
	s_mul_hi_u32 s2, s8, 56
	s_add_i32 s2, s2, s0
	s_mul_i32 s3, s8, 56
	v_mov_b32_e32 v4, s2
	v_add_co_u32_e64 v3, s[0:1], s3, v1
	v_addc_co_u32_e64 v4, s[0:1], v2, v4, s[0:1]
	v_mov_b32_e32 v6, s2
	v_add_co_u32_e64 v5, s[0:1], s3, v3
	v_addc_co_u32_e64 v6, s[0:1], v4, v6, s[0:1]
	v_mov_b32_e32 v8, s2
	v_add_co_u32_e64 v7, s[0:1], s3, v5
	v_addc_co_u32_e64 v8, s[0:1], v6, v8, s[0:1]
	global_load_dwordx2 v[9:10], v45, s[6:7]
	global_load_dwordx2 v[11:12], v45, s[6:7] offset:56
	global_load_dwordx2 v[13:14], v45, s[6:7] offset:112
	;; [unrolled: 1-line block ×3, first 2 shown]
	global_load_dwordx2 v[17:18], v[1:2], off
	global_load_dwordx2 v[19:20], v[3:4], off
	;; [unrolled: 1-line block ×4, first 2 shown]
	s_nop 0
	global_load_dwordx2 v[3:4], v45, s[6:7] offset:224
	global_load_dwordx2 v[5:6], v45, s[6:7] offset:280
	;; [unrolled: 1-line block ×4, first 2 shown]
	v_mad_u64_u32 v[1:2], s[0:1], s8, v46, 0
	v_mov_b32_e32 v33, s2
	v_mov_b32_e32 v34, s2
	v_mov_b32_e32 v35, s2
	v_mov_b32_e32 v37, s2
	s_waitcnt vmcnt(3)
	v_mad_u64_u32 v[29:30], s[0:1], s9, v46, v[2:3]
	v_add_co_u32_e64 v7, s[0:1], s3, v7
	v_addc_co_u32_e64 v8, s[0:1], v8, v33, s[0:1]
	v_mov_b32_e32 v2, v29
	global_load_dwordx2 v[29:30], v[7:8], off
	v_add_co_u32_e64 v7, s[0:1], s3, v7
	v_addc_co_u32_e64 v8, s[0:1], v8, v34, s[0:1]
	global_load_dwordx2 v[33:34], v[7:8], off
	v_add_co_u32_e64 v7, s[0:1], s3, v7
	v_addc_co_u32_e64 v8, s[0:1], v8, v35, s[0:1]
	global_load_dwordx2 v[35:36], v[7:8], off
	v_add_co_u32_e64 v7, s[0:1], s3, v7
	v_lshlrev_b64 v[1:2], 3, v[1:2]
	v_addc_co_u32_e64 v8, s[0:1], v8, v37, s[0:1]
	global_load_dwordx2 v[37:38], v[7:8], off
	v_mad_u64_u32 v[7:8], s[0:1], s8, v40, v[7:8]
	v_add_co_u32_e64 v1, s[0:1], v31, v1
	v_addc_co_u32_e64 v2, s[0:1], v39, v2, s[0:1]
	s_mul_i32 s0, s9, 0x70
	v_add_u32_e32 v8, s0, v8
	global_load_dwordx2 v[39:40], v[7:8], off
	v_mov_b32_e32 v31, s2
	v_add_co_u32_e64 v7, s[0:1], s3, v7
	v_addc_co_u32_e64 v8, s[0:1], v8, v31, s[0:1]
	global_load_dwordx2 v[41:42], v[7:8], off
	v_add_co_u32_e64 v7, s[0:1], s3, v7
	v_addc_co_u32_e64 v8, s[0:1], v8, v31, s[0:1]
	global_load_dwordx2 v[1:2], v[1:2], off
	s_nop 0
	global_load_dwordx2 v[49:50], v[7:8], off
	global_load_dwordx2 v[51:52], v45, s[6:7] offset:448
	global_load_dwordx2 v[53:54], v45, s[6:7] offset:504
	global_load_dwordx2 v[55:56], v45, s[6:7] offset:560
	global_load_dwordx2 v[57:58], v45, s[6:7] offset:616
	v_add_co_u32_e64 v7, s[0:1], s3, v7
	v_addc_co_u32_e64 v8, s[0:1], v8, v31, s[0:1]
	global_load_dwordx2 v[59:60], v[7:8], off
	global_load_dwordx2 v[61:62], v45, s[6:7] offset:672
	v_add_co_u32_e64 v7, s[0:1], s3, v7
	v_addc_co_u32_e64 v8, s[0:1], v8, v31, s[0:1]
	global_load_dwordx2 v[63:64], v[7:8], off
	v_add_co_u32_e64 v7, s[0:1], s3, v7
	v_addc_co_u32_e64 v8, s[0:1], v8, v31, s[0:1]
	global_load_dwordx2 v[65:66], v45, s[6:7] offset:728
	global_load_dwordx2 v[67:68], v[7:8], off
	global_load_dwordx2 v[69:70], v45, s[6:7] offset:784
	v_add_co_u32_e64 v7, s[0:1], s3, v7
	v_addc_co_u32_e64 v8, s[0:1], v8, v31, s[0:1]
	global_load_dwordx2 v[71:72], v[7:8], off
	global_load_dwordx2 v[73:74], v45, s[6:7] offset:840
	v_mul_f32_e32 v7, v18, v10
	v_mul_f32_e32 v8, v17, v10
	v_fmac_f32_e32 v7, v17, v9
	v_fma_f32 v8, v18, v9, -v8
	v_mul_f32_e32 v9, v20, v12
	v_mul_f32_e32 v10, v19, v12
	v_lshlrev_b32_e32 v31, 3, v32
	v_fmac_f32_e32 v9, v19, v11
	v_fma_f32 v10, v20, v11, -v10
	ds_write_b64 v31, v[7:8]
	v_mul_f32_e32 v7, v22, v14
	v_mul_f32_e32 v8, v21, v14
	ds_write_b64 v0, v[9:10] offset:56
	v_mul_f32_e32 v9, v24, v16
	v_mul_f32_e32 v10, v23, v16
	v_fmac_f32_e32 v7, v21, v13
	v_fma_f32 v8, v22, v13, -v8
	v_fmac_f32_e32 v9, v23, v15
	v_fma_f32 v10, v24, v15, -v10
	ds_write2_b64 v43, v[7:8], v[9:10] offset0:14 offset1:21
	s_waitcnt vmcnt(19)
	v_mul_f32_e32 v7, v30, v4
	v_mul_f32_e32 v4, v29, v4
	v_fmac_f32_e32 v7, v29, v3
	v_fma_f32 v8, v30, v3, -v4
	s_waitcnt vmcnt(18)
	v_mul_f32_e32 v3, v34, v6
	v_mul_f32_e32 v4, v33, v6
	v_fmac_f32_e32 v3, v33, v5
	v_fma_f32 v4, v34, v5, -v4
	ds_write2_b64 v43, v[7:8], v[3:4] offset0:28 offset1:35
	s_waitcnt vmcnt(17)
	v_mul_f32_e32 v3, v36, v26
	v_mul_f32_e32 v4, v35, v26
	v_fmac_f32_e32 v3, v35, v25
	v_fma_f32 v4, v36, v25, -v4
	s_waitcnt vmcnt(16)
	v_mul_f32_e32 v5, v38, v28
	v_mul_f32_e32 v6, v37, v28
	v_fmac_f32_e32 v5, v37, v27
	v_fma_f32 v6, v38, v27, -v6
	ds_write2_b64 v43, v[3:4], v[5:6] offset0:42 offset1:49
	s_waitcnt vmcnt(11)
	v_mul_f32_e32 v3, v2, v52
	v_fmac_f32_e32 v3, v1, v51
	v_mul_f32_e32 v1, v1, v52
	v_fma_f32 v4, v2, v51, -v1
	s_waitcnt vmcnt(10)
	v_mul_f32_e32 v1, v40, v54
	v_mul_f32_e32 v2, v39, v54
	v_fmac_f32_e32 v1, v39, v53
	v_fma_f32 v2, v40, v53, -v2
	ds_write2_b64 v43, v[3:4], v[1:2] offset0:56 offset1:63
	s_waitcnt vmcnt(9)
	v_mul_f32_e32 v1, v42, v56
	v_mul_f32_e32 v2, v41, v56
	s_waitcnt vmcnt(8)
	v_mul_f32_e32 v3, v50, v58
	v_mul_f32_e32 v4, v49, v58
	v_fmac_f32_e32 v1, v41, v55
	v_fma_f32 v2, v42, v55, -v2
	v_fmac_f32_e32 v3, v49, v57
	v_fma_f32 v4, v50, v57, -v4
	ds_write2_b64 v43, v[1:2], v[3:4] offset0:70 offset1:77
	s_waitcnt vmcnt(6)
	v_mul_f32_e32 v1, v60, v62
	v_mul_f32_e32 v2, v59, v62
	s_waitcnt vmcnt(4)
	v_mul_f32_e32 v3, v64, v66
	v_mul_f32_e32 v4, v63, v66
	v_fmac_f32_e32 v1, v59, v61
	v_fma_f32 v2, v60, v61, -v2
	v_fmac_f32_e32 v3, v63, v65
	v_fma_f32 v4, v64, v65, -v4
	ds_write2_b64 v43, v[1:2], v[3:4] offset0:84 offset1:91
	s_waitcnt vmcnt(2)
	v_mul_f32_e32 v1, v68, v70
	v_mul_f32_e32 v2, v67, v70
	s_waitcnt vmcnt(0)
	v_mul_f32_e32 v3, v72, v74
	v_mul_f32_e32 v4, v71, v74
	v_fmac_f32_e32 v1, v67, v69
	v_fma_f32 v2, v68, v69, -v2
	v_fmac_f32_e32 v3, v71, v73
	v_fma_f32 v4, v72, v73, -v4
	ds_write2_b64 v43, v[1:2], v[3:4] offset0:98 offset1:105
.LBB0_3:
	s_or_b64 exec, exec, s[14:15]
	s_load_dwordx2 s[0:1], s[4:5], 0x20
	s_load_dwordx2 s[8:9], s[4:5], 0x8
	v_lshlrev_b32_e32 v49, 3, v48
	s_waitcnt lgkmcnt(0)
	s_barrier
	s_waitcnt lgkmcnt(0)
                                        ; implicit-def: $vgpr17
                                        ; implicit-def: $vgpr25
                                        ; implicit-def: $vgpr14
                                        ; implicit-def: $vgpr22
                                        ; implicit-def: $vgpr6
                                        ; implicit-def: $vgpr10
                                        ; implicit-def: $vgpr2
                                        ; implicit-def: $vgpr28
                                        ; implicit-def: $vgpr30
	s_and_saveexec_b64 s[2:3], vcc
	s_cbranch_execz .LBB0_5
; %bb.4:
	v_lshlrev_b32_e32 v1, 3, v32
	v_lshl_add_u32 v24, v47, 3, v49
	ds_read_b64 v[30:31], v1
	ds_read_b64 v[28:29], v0 offset:56
	ds_read2_b64 v[0:3], v24 offset0:14 offset1:21
	ds_read2_b64 v[8:11], v24 offset0:28 offset1:35
	;; [unrolled: 1-line block ×7, first 2 shown]
.LBB0_5:
	s_or_b64 exec, exec, s[2:3]
	s_waitcnt lgkmcnt(3)
	v_sub_f32_e32 v20, v30, v20
	s_waitcnt lgkmcnt(1)
	v_sub_f32_e32 v17, v9, v17
	v_sub_f32_e32 v21, v31, v21
	;; [unrolled: 1-line block ×3, first 2 shown]
	v_fma_f32 v9, v9, 2.0, -v17
	v_sub_f32_e32 v12, v0, v12
	v_sub_f32_e32 v13, v1, v13
	s_waitcnt lgkmcnt(0)
	v_sub_f32_e32 v24, v4, v24
	v_sub_f32_e32 v25, v5, v25
	v_sub_f32_e32 v17, v20, v17
	v_fma_f32 v30, v30, 2.0, -v20
	v_fma_f32 v8, v8, 2.0, -v16
	;; [unrolled: 1-line block ×6, first 2 shown]
	v_sub_f32_e32 v15, v3, v15
	v_sub_f32_e32 v27, v7, v27
	v_add_f32_e32 v16, v16, v21
	v_fma_f32 v20, v20, 2.0, -v17
	v_sub_f32_e32 v25, v12, v25
	v_fma_f32 v31, v31, 2.0, -v21
	v_fma_f32 v3, v3, 2.0, -v15
	;; [unrolled: 1-line block ×4, first 2 shown]
	v_sub_f32_e32 v33, v0, v4
	v_sub_f32_e32 v34, v1, v5
	v_add_f32_e32 v24, v24, v13
	v_fma_f32 v5, v12, 2.0, -v25
	v_mov_b32_e32 v4, v20
	v_fma_f32 v12, v13, 2.0, -v24
	v_sub_f32_e32 v37, v3, v7
	v_fmac_f32_e32 v4, 0xbf3504f3, v5
	v_mov_b32_e32 v7, v21
	v_sub_f32_e32 v22, v28, v22
	v_sub_f32_e32 v18, v10, v18
	;; [unrolled: 1-line block ×4, first 2 shown]
	v_fmac_f32_e32 v7, 0xbf3504f3, v12
	v_fmac_f32_e32 v4, 0xbf3504f3, v12
	v_fma_f32 v28, v28, 2.0, -v22
	v_fma_f32 v10, v10, 2.0, -v18
	v_fma_f32 v2, v2, 2.0, -v14
	v_fma_f32 v6, v6, 2.0, -v26
	v_sub_f32_e32 v8, v30, v8
	v_fmac_f32_e32 v7, 0x3f3504f3, v5
	v_fma_f32 v5, v20, 2.0, -v4
	v_mov_b32_e32 v20, v17
	v_sub_f32_e32 v23, v29, v23
	v_sub_f32_e32 v19, v11, v19
	v_fma_f32 v30, v30, 2.0, -v8
	v_fma_f32 v0, v0, 2.0, -v33
	v_sub_f32_e32 v13, v28, v10
	v_sub_f32_e32 v36, v2, v6
	v_fmac_f32_e32 v20, 0x3f3504f3, v25
	v_fma_f32 v29, v29, 2.0, -v23
	v_fma_f32 v11, v11, 2.0, -v19
	v_sub_f32_e32 v9, v31, v9
	v_fma_f32 v28, v28, 2.0, -v13
	v_sub_f32_e32 v19, v22, v19
	v_add_f32_e32 v18, v18, v23
	v_fma_f32 v38, v2, 2.0, -v36
	v_sub_f32_e32 v2, v30, v0
	v_fma_f32 v6, v21, 2.0, -v7
	v_mov_b32_e32 v21, v16
	v_fmac_f32_e32 v20, 0xbf3504f3, v24
	v_sub_f32_e32 v35, v29, v11
	v_fma_f32 v39, v3, 2.0, -v37
	v_sub_f32_e32 v27, v14, v27
	v_add_f32_e32 v26, v26, v15
	v_fma_f32 v0, v30, 2.0, -v2
	v_add_f32_e32 v11, v33, v9
	v_fmac_f32_e32 v21, 0x3f3504f3, v24
	v_fma_f32 v33, v17, 2.0, -v20
	v_sub_f32_e32 v17, v28, v38
	v_sub_f32_e32 v30, v13, v37
	v_mov_b32_e32 v37, v19
	v_mov_b32_e32 v38, v18
	v_fma_f32 v29, v29, 2.0, -v35
	v_fmac_f32_e32 v21, 0x3f3504f3, v25
	v_fmac_f32_e32 v37, 0x3f3504f3, v27
	;; [unrolled: 1-line block ×3, first 2 shown]
	v_fma_f32 v1, v1, 2.0, -v34
	v_fma_f32 v22, v22, 2.0, -v19
	;; [unrolled: 1-line block ×3, first 2 shown]
	v_sub_f32_e32 v10, v8, v34
	v_fma_f32 v34, v16, 2.0, -v21
	v_sub_f32_e32 v16, v29, v39
	v_fmac_f32_e32 v37, 0xbf3504f3, v26
	v_fmac_f32_e32 v38, 0x3f3504f3, v27
	v_fma_f32 v14, v14, 2.0, -v27
	v_fma_f32 v15, v15, 2.0, -v26
	;; [unrolled: 1-line block ×4, first 2 shown]
	v_mov_b32_e32 v28, v22
	v_mov_b32_e32 v29, v23
	v_fma_f32 v19, v19, 2.0, -v37
	v_fma_f32 v18, v18, 2.0, -v38
	v_mov_b32_e32 v26, v33
	v_mov_b32_e32 v27, v34
	v_fmac_f32_e32 v28, 0xbf3504f3, v14
	v_fmac_f32_e32 v29, 0xbf3504f3, v15
	;; [unrolled: 1-line block ×4, first 2 shown]
	v_fma_f32 v31, v31, 2.0, -v9
	v_fmac_f32_e32 v28, 0xbf3504f3, v15
	v_fmac_f32_e32 v29, 0x3f3504f3, v14
	;; [unrolled: 1-line block ×4, first 2 shown]
	v_mov_b32_e32 v18, v4
	v_mov_b32_e32 v19, v7
	v_sub_f32_e32 v3, v31, v1
	v_fmac_f32_e32 v18, 0x3ec3ef15, v28
	v_fmac_f32_e32 v19, 0x3ec3ef15, v29
	v_fma_f32 v1, v31, 2.0, -v3
	v_fma_f32 v22, v22, 2.0, -v28
	;; [unrolled: 1-line block ×3, first 2 shown]
	v_add_f32_e32 v31, v36, v35
	v_fmac_f32_e32 v18, 0xbf6c835e, v29
	v_fmac_f32_e32 v19, 0x3f6c835e, v28
	v_mov_b32_e32 v28, v10
	v_mov_b32_e32 v29, v11
	v_fmac_f32_e32 v28, 0x3f3504f3, v30
	v_fmac_f32_e32 v29, 0x3f3504f3, v31
	v_fma_f32 v8, v8, 2.0, -v10
	v_fma_f32 v9, v9, 2.0, -v11
	;; [unrolled: 1-line block ×4, first 2 shown]
	v_fmac_f32_e32 v28, 0xbf3504f3, v31
	v_fmac_f32_e32 v29, 0x3f3504f3, v30
	v_mov_b32_e32 v30, v20
	v_mov_b32_e32 v31, v21
	v_sub_f32_e32 v13, v1, v24
	v_mov_b32_e32 v14, v5
	v_mov_b32_e32 v15, v6
	;; [unrolled: 1-line block ×4, first 2 shown]
	v_fmac_f32_e32 v30, 0x3f6c835e, v37
	v_fmac_f32_e32 v31, 0x3f6c835e, v38
	;; [unrolled: 1-line block ×8, first 2 shown]
	v_sub_f32_e32 v12, v0, v12
	v_fmac_f32_e32 v14, 0xbec3ef15, v23
	v_fmac_f32_e32 v15, 0x3ec3ef15, v22
	;; [unrolled: 1-line block ×4, first 2 shown]
	v_sub_f32_e32 v16, v2, v16
	v_add_f32_e32 v17, v17, v3
	v_fma_f32 v22, v20, 2.0, -v30
	v_fma_f32 v23, v21, 2.0, -v31
	v_lshlrev_b32_e32 v51, 4, v47
	s_barrier
	s_and_saveexec_b64 s[2:3], vcc
	s_cbranch_execz .LBB0_7
; %bb.6:
	v_fma_f32 v37, v4, 2.0, -v18
	v_fma_f32 v36, v3, 2.0, -v17
	;; [unrolled: 1-line block ×7, first 2 shown]
	v_add_lshl_u32 v4, v48, v51, 3
	v_fma_f32 v21, v11, 2.0, -v29
	v_fma_f32 v20, v10, 2.0, -v28
	;; [unrolled: 1-line block ×7, first 2 shown]
	ds_write_b128 v4, v[0:3]
	ds_write_b128 v4, v[8:11] offset:16
	ds_write_b128 v4, v[35:38] offset:32
	;; [unrolled: 1-line block ×7, first 2 shown]
.LBB0_7:
	s_or_b64 exec, exec, s[2:3]
	v_mul_u32_u24_e32 v0, 6, v47
	v_lshlrev_b32_e32 v50, 3, v32
	v_lshlrev_b32_e32 v52, 3, v0
	s_load_dwordx4 s[0:3], s[0:1], 0x0
	s_waitcnt lgkmcnt(0)
	s_barrier
	ds_read2_b64 v[32:35], v50 offset1:16
	ds_read2_b64 v[36:39], v50 offset0:32 offset1:48
	ds_read2_b64 v[40:43], v50 offset0:64 offset1:80
	ds_read_b64 v[20:21], v50 offset:768
	global_load_dwordx4 v[0:3], v52, s[8:9] offset:32
	global_load_dwordx4 v[4:7], v52, s[8:9] offset:16
	global_load_dwordx4 v[8:11], v52, s[8:9]
	s_mov_b32 s5, 0x3f3bfb3b
	s_mov_b32 s4, 0x3f5ff5aa
	v_lshl_add_u32 v49, v47, 3, v49
	s_waitcnt vmcnt(0) lgkmcnt(3)
	v_mul_f32_e32 v52, v35, v9
	v_fma_f32 v52, v34, v8, -v52
	v_mul_f32_e32 v34, v34, v9
	v_fmac_f32_e32 v34, v35, v8
	s_waitcnt lgkmcnt(2)
	v_mul_f32_e32 v35, v37, v11
	v_fma_f32 v35, v36, v10, -v35
	v_mul_f32_e32 v36, v36, v11
	v_fmac_f32_e32 v36, v37, v10
	v_mul_f32_e32 v37, v39, v5
	v_fma_f32 v37, v38, v4, -v37
	v_mul_f32_e32 v38, v38, v5
	v_fmac_f32_e32 v38, v39, v4
	s_waitcnt lgkmcnt(1)
	v_mul_f32_e32 v39, v41, v7
	v_fma_f32 v39, v40, v6, -v39
	v_mul_f32_e32 v40, v40, v7
	v_fmac_f32_e32 v40, v41, v6
	;; [unrolled: 9-line block ×3, first 2 shown]
	v_add_f32_e32 v21, v52, v43
	v_add_f32_e32 v53, v34, v20
	v_sub_f32_e32 v20, v34, v20
	v_add_f32_e32 v34, v35, v41
	v_sub_f32_e32 v43, v52, v43
	;; [unrolled: 2-line block ×3, first 2 shown]
	v_sub_f32_e32 v36, v36, v42
	v_add_f32_e32 v41, v37, v39
	v_add_f32_e32 v42, v38, v40
	v_sub_f32_e32 v37, v39, v37
	v_sub_f32_e32 v38, v40, v38
	v_add_f32_e32 v39, v34, v21
	v_add_f32_e32 v40, v52, v53
	;; [unrolled: 1-line block ×4, first 2 shown]
	v_sub_f32_e32 v54, v34, v21
	v_sub_f32_e32 v55, v52, v53
	;; [unrolled: 1-line block ×5, first 2 shown]
	v_add_f32_e32 v21, v37, v35
	v_sub_f32_e32 v59, v38, v36
	v_sub_f32_e32 v38, v20, v38
	;; [unrolled: 1-line block ×3, first 2 shown]
	v_add_f32_e32 v40, v42, v40
	v_add_f32_e32 v42, v57, v20
	;; [unrolled: 1-line block ×3, first 2 shown]
	v_sub_f32_e32 v34, v41, v34
	v_add_f32_e32 v41, v21, v43
	v_add_f32_e32 v21, v33, v40
	v_mov_b32_e32 v60, v20
	v_sub_f32_e32 v58, v37, v35
	v_sub_f32_e32 v37, v43, v37
	;; [unrolled: 1-line block ×3, first 2 shown]
	v_mul_f32_e32 v33, 0x3f4a47b2, v53
	v_mul_f32_e32 v43, 0x3d64c772, v34
	;; [unrolled: 1-line block ×3, first 2 shown]
	v_fmac_f32_e32 v60, 0xbf955555, v39
	v_mov_b32_e32 v39, v21
	v_mul_f32_e32 v32, 0x3f4a47b2, v56
	v_mul_f32_e32 v56, 0xbf08b237, v58
	;; [unrolled: 1-line block ×3, first 2 shown]
	v_fmac_f32_e32 v39, 0xbf955555, v40
	v_fma_f32 v40, v54, s5, -v43
	v_fma_f32 v43, v55, s5, -v53
	s_mov_b32 s5, 0xbf3bfb3b
	v_mul_f32_e32 v58, 0x3f5ff5aa, v35
	v_mul_f32_e32 v59, 0x3f5ff5aa, v36
	v_fma_f32 v53, v54, s5, -v32
	v_fmac_f32_e32 v32, 0x3d64c772, v34
	v_fma_f32 v34, v55, s5, -v33
	v_fmac_f32_e32 v33, 0x3d64c772, v52
	v_fma_f32 v35, v35, s4, -v56
	v_fma_f32 v52, v36, s4, -v57
	s_mov_b32 s4, 0xbeae86e6
	v_fmac_f32_e32 v56, 0x3eae86e6, v37
	v_fmac_f32_e32 v57, 0x3eae86e6, v38
	v_fma_f32 v54, v37, s4, -v58
	v_fma_f32 v55, v38, s4, -v59
	v_add_f32_e32 v58, v32, v60
	v_add_f32_e32 v59, v33, v39
	;; [unrolled: 1-line block ×6, first 2 shown]
	v_fmac_f32_e32 v56, 0x3ee1c552, v41
	v_fmac_f32_e32 v57, 0x3ee1c552, v42
	;; [unrolled: 1-line block ×6, first 2 shown]
	v_add_f32_e32 v36, v57, v58
	v_sub_f32_e32 v37, v59, v56
	v_add_f32_e32 v38, v55, v53
	v_sub_f32_e32 v39, v60, v54
	v_sub_f32_e32 v32, v40, v52
	v_add_f32_e32 v33, v35, v43
	v_add_f32_e32 v34, v52, v40
	v_sub_f32_e32 v35, v43, v35
	v_sub_f32_e32 v40, v53, v55
	v_add_f32_e32 v41, v54, v60
	v_sub_f32_e32 v42, v58, v57
	v_add_f32_e32 v43, v56, v59
	ds_write_b64 v50, v[20:21]
	ds_write2_b64 v49, v[36:37], v[38:39] offset0:16 offset1:32
	ds_write2_b64 v49, v[32:33], v[34:35] offset0:48 offset1:64
	;; [unrolled: 1-line block ×3, first 2 shown]
	s_waitcnt lgkmcnt(0)
	s_barrier
	s_and_saveexec_b64 s[4:5], vcc
	s_cbranch_execz .LBB0_9
; %bb.8:
	global_load_dwordx2 v[54:55], v45, s[6:7] offset:896
	ds_read_b64 v[52:53], v50
	s_add_u32 s8, s6, 0x380
	s_addc_u32 s9, s7, 0
	s_waitcnt vmcnt(0) lgkmcnt(0)
	v_mul_f32_e32 v56, v53, v55
	v_mul_f32_e32 v57, v52, v55
	v_fma_f32 v56, v52, v54, -v56
	v_fmac_f32_e32 v57, v53, v54
	ds_write_b64 v50, v[56:57]
	global_load_dwordx2 v[56:57], v45, s[8:9] offset:56
	ds_read2_b64 v[52:55], v49 offset0:7 offset1:14
	s_waitcnt vmcnt(0) lgkmcnt(0)
	v_mul_f32_e32 v58, v53, v57
	v_mul_f32_e32 v59, v52, v57
	v_fma_f32 v58, v52, v56, -v58
	v_fmac_f32_e32 v59, v53, v56
	global_load_dwordx2 v[52:53], v45, s[8:9] offset:112
	s_waitcnt vmcnt(0)
	v_mul_f32_e32 v56, v55, v53
	v_mul_f32_e32 v57, v54, v53
	v_fma_f32 v56, v54, v52, -v56
	v_fmac_f32_e32 v57, v55, v52
	ds_write2_b64 v49, v[58:59], v[56:57] offset0:7 offset1:14
	global_load_dwordx2 v[56:57], v45, s[8:9] offset:168
	ds_read2_b64 v[52:55], v49 offset0:21 offset1:28
	s_waitcnt vmcnt(0) lgkmcnt(0)
	v_mul_f32_e32 v58, v53, v57
	v_mul_f32_e32 v59, v52, v57
	v_fma_f32 v58, v52, v56, -v58
	v_fmac_f32_e32 v59, v53, v56
	global_load_dwordx2 v[52:53], v45, s[8:9] offset:224
	s_waitcnt vmcnt(0)
	v_mul_f32_e32 v56, v55, v53
	v_mul_f32_e32 v57, v54, v53
	v_fma_f32 v56, v54, v52, -v56
	v_fmac_f32_e32 v57, v55, v52
	ds_write2_b64 v49, v[58:59], v[56:57] offset0:21 offset1:28
	;; [unrolled: 14-line block ×6, first 2 shown]
	global_load_dwordx2 v[56:57], v45, s[8:9] offset:728
	ds_read2_b64 v[52:55], v49 offset0:91 offset1:98
	s_waitcnt vmcnt(0) lgkmcnt(0)
	v_mul_f32_e32 v58, v53, v57
	v_mul_f32_e32 v59, v52, v57
	v_fma_f32 v58, v52, v56, -v58
	v_fmac_f32_e32 v59, v53, v56
	global_load_dwordx2 v[52:53], v45, s[8:9] offset:784
	s_waitcnt vmcnt(0)
	v_mul_f32_e32 v56, v55, v53
	v_mul_f32_e32 v57, v54, v53
	v_fma_f32 v56, v54, v52, -v56
	v_fmac_f32_e32 v57, v55, v52
	global_load_dwordx2 v[54:55], v45, s[8:9] offset:840
	ds_read_b64 v[52:53], v49 offset:840
	ds_write2_b64 v49, v[58:59], v[56:57] offset0:91 offset1:98
	s_waitcnt vmcnt(0) lgkmcnt(1)
	v_mul_f32_e32 v56, v53, v55
	v_mul_f32_e32 v57, v52, v55
	v_fma_f32 v56, v52, v54, -v56
	v_fmac_f32_e32 v57, v53, v54
	ds_write_b64 v49, v[56:57] offset:840
.LBB0_9:
	s_or_b64 exec, exec, s[4:5]
	s_waitcnt lgkmcnt(0)
	s_barrier
	s_and_saveexec_b64 s[4:5], vcc
	s_cbranch_execz .LBB0_11
; %bb.10:
	ds_read2_b64 v[36:39], v49 offset0:7 offset1:14
	ds_read2_b64 v[32:35], v49 offset0:21 offset1:28
	;; [unrolled: 1-line block ×7, first 2 shown]
	ds_read_b64 v[20:21], v50
	ds_read_b64 v[30:31], v49 offset:840
	s_waitcnt lgkmcnt(4)
	v_mov_b32_e32 v17, v15
	v_mov_b32_e32 v16, v14
	s_waitcnt lgkmcnt(2)
	v_mov_b32_e32 v19, v27
	v_mov_b32_e32 v18, v26
	v_mov_b32_e32 v26, v12
	v_mov_b32_e32 v27, v13
	v_mov_b32_e32 v14, v22
	v_mov_b32_e32 v15, v23
	v_mov_b32_e32 v12, v54
	v_mov_b32_e32 v13, v55
	v_mov_b32_e32 v22, v52
	v_mov_b32_e32 v23, v53
.LBB0_11:
	s_or_b64 exec, exec, s[4:5]
	s_waitcnt lgkmcnt(0)
	s_barrier
	s_and_saveexec_b64 s[4:5], vcc
	s_cbranch_execz .LBB0_13
; %bb.12:
	v_sub_f32_e32 v27, v33, v27
	v_sub_f32_e32 v30, v22, v30
	;; [unrolled: 1-line block ×6, first 2 shown]
	v_fma_f32 v22, v22, 2.0, -v30
	v_sub_f32_e32 v30, v20, v12
	v_sub_f32_e32 v25, v39, v25
	v_sub_f32_e32 v28, v42, v28
	v_sub_f32_e32 v54, v53, v16
	v_sub_f32_e32 v13, v43, v29
	v_sub_f32_e32 v24, v38, v24
	v_sub_f32_e32 v57, v37, v15
	v_sub_f32_e32 v58, v40, v18
	v_sub_f32_e32 v61, v41, v19
	v_sub_f32_e32 v62, v36, v14
	v_add_f32_e32 v65, v17, v30
	v_fma_f32 v21, v21, 2.0, -v53
	v_fma_f32 v12, v35, 2.0, -v17
	v_sub_f32_e32 v52, v25, v28
	v_mov_b32_e32 v55, v54
	v_add_f32_e32 v29, v13, v24
	v_sub_f32_e32 v59, v57, v58
	v_sub_f32_e32 v18, v23, v31
	;; [unrolled: 1-line block ×3, first 2 shown]
	v_add_f32_e32 v63, v61, v62
	v_mov_b32_e32 v66, v65
	v_sub_f32_e32 v67, v21, v12
	v_fma_f32 v12, v42, 2.0, -v28
	v_fma_f32 v38, v38, 2.0, -v24
	v_fmac_f32_e32 v55, 0x3f3504f3, v52
	v_mov_b32_e32 v60, v59
	v_add_f32_e32 v31, v18, v26
	v_mov_b32_e32 v64, v63
	v_fmac_f32_e32 v66, 0x3f3504f3, v29
	v_fma_f32 v28, v40, 2.0, -v58
	v_sub_f32_e32 v40, v38, v12
	v_fma_f32 v20, v20, 2.0, -v30
	v_fma_f32 v12, v34, 2.0, -v16
	v_fmac_f32_e32 v55, 0xbf3504f3, v29
	v_fmac_f32_e32 v60, 0x3f3504f3, v56
	;; [unrolled: 1-line block ×3, first 2 shown]
	v_fma_f32 v23, v23, 2.0, -v18
	v_fmac_f32_e32 v66, 0x3f3504f3, v52
	v_fma_f32 v32, v32, 2.0, -v26
	v_fma_f32 v33, v33, 2.0, -v27
	v_sub_f32_e32 v69, v20, v12
	v_fmac_f32_e32 v60, 0xbf3504f3, v31
	v_fmac_f32_e32 v64, 0x3f3504f3, v56
	v_fma_f32 v17, v41, 2.0, -v61
	v_fma_f32 v35, v43, 2.0, -v13
	v_sub_f32_e32 v43, v32, v22
	v_sub_f32_e32 v61, v33, v23
	v_fma_f32 v24, v24, 2.0, -v29
	v_fma_f32 v77, v20, 2.0, -v69
	;; [unrolled: 1-line block ×5, first 2 shown]
	v_sub_f32_e32 v41, v67, v40
	v_fma_f32 v37, v37, 2.0, -v57
	v_fma_f32 v26, v26, 2.0, -v31
	v_fma_f32 v72, v30, 2.0, -v65
	v_fma_f32 v74, v21, 2.0, -v67
	v_fma_f32 v21, v32, 2.0, -v43
	v_sub_f32_e32 v40, v77, v20
	v_fma_f32 v20, v33, 2.0, -v61
	v_fma_f32 v32, v59, 2.0, -v60
	v_mov_b32_e32 v31, v29
	v_fma_f32 v33, v63, 2.0, -v64
	v_mov_b32_e32 v30, v34
	v_sub_f32_e32 v42, v37, v17
	v_fma_f32 v36, v36, 2.0, -v62
	v_fma_f32 v53, v53, 2.0, -v54
	v_fmac_f32_e32 v31, 0xbec3ef15, v32
	v_fmac_f32_e32 v30, 0xbec3ef15, v33
	v_fma_f32 v39, v39, 2.0, -v25
	v_sub_f32_e32 v58, v42, v43
	v_sub_f32_e32 v28, v36, v28
	v_fma_f32 v25, v25, 2.0, -v52
	v_mov_b32_e32 v52, v53
	v_fmac_f32_e32 v31, 0xbf6c835e, v33
	v_fmac_f32_e32 v30, 0x3f6c835e, v32
	v_fma_f32 v32, v67, 2.0, -v41
	v_add_f32_e32 v68, v61, v28
	v_sub_f32_e32 v22, v39, v35
	v_fmac_f32_e32 v52, 0xbf3504f3, v25
	v_mov_b32_e32 v73, v72
	v_fma_f32 v35, v29, 2.0, -v31
	v_fma_f32 v38, v42, 2.0, -v58
	v_mov_b32_e32 v29, v32
	v_fmac_f32_e32 v52, 0xbf3504f3, v24
	v_fmac_f32_e32 v73, 0xbf3504f3, v24
	v_fma_f32 v24, v39, 2.0, -v22
	v_fmac_f32_e32 v29, 0xbf3504f3, v38
	v_fma_f32 v39, v28, 2.0, -v68
	v_add_f32_e32 v70, v22, v69
	v_fmac_f32_e32 v29, 0xbf3504f3, v39
	v_fma_f32 v57, v57, 2.0, -v59
	v_fma_f32 v33, v32, 2.0, -v29
	;; [unrolled: 1-line block ×3, first 2 shown]
	v_mov_b32_e32 v13, v41
	v_fma_f32 v27, v27, 2.0, -v56
	v_mov_b32_e32 v56, v57
	v_fma_f32 v62, v62, 2.0, -v63
	v_fma_f32 v36, v36, 2.0, -v28
	v_mov_b32_e32 v28, v32
	v_fmac_f32_e32 v13, 0x3f3504f3, v58
	v_fmac_f32_e32 v56, 0xbf3504f3, v27
	v_mov_b32_e32 v71, v62
	v_fmac_f32_e32 v28, 0xbf3504f3, v39
	v_fmac_f32_e32 v13, 0xbf3504f3, v68
	;; [unrolled: 1-line block ×3, first 2 shown]
	v_mov_b32_e32 v23, v52
	v_fmac_f32_e32 v71, 0xbf3504f3, v26
	v_fmac_f32_e32 v28, 0x3f3504f3, v38
	v_fma_f32 v38, v53, 2.0, -v52
	v_fma_f32 v17, v41, 2.0, -v13
	v_fmac_f32_e32 v23, 0x3ec3ef15, v56
	v_fmac_f32_e32 v71, 0x3f3504f3, v27
	v_fma_f32 v41, v57, 2.0, -v56
	v_mov_b32_e32 v39, v38
	v_fmac_f32_e32 v23, 0xbf6c835e, v71
	v_fmac_f32_e32 v73, 0x3f3504f3, v25
	v_fma_f32 v37, v37, 2.0, -v42
	v_fmac_f32_e32 v39, 0xbf6c835e, v41
	v_fma_f32 v42, v62, 2.0, -v71
	v_fma_f32 v27, v52, 2.0, -v23
	v_fmac_f32_e32 v39, 0xbec3ef15, v42
	v_fma_f32 v52, v72, 2.0, -v73
	v_sub_f32_e32 v61, v37, v20
	v_fma_f32 v43, v38, 2.0, -v39
	v_mov_b32_e32 v38, v52
	v_sub_f32_e32 v75, v74, v24
	v_sub_f32_e32 v76, v36, v21
	v_add_f32_e32 v20, v61, v40
	v_fmac_f32_e32 v38, 0xbf6c835e, v42
	v_mov_b32_e32 v15, v55
	v_mov_b32_e32 v14, v66
	;; [unrolled: 1-line block ×4, first 2 shown]
	v_fma_f32 v24, v40, 2.0, -v20
	v_fmac_f32_e32 v38, 0x3ec3ef15, v41
	v_fma_f32 v41, v74, 2.0, -v75
	v_fma_f32 v37, v37, 2.0, -v61
	;; [unrolled: 1-line block ×4, first 2 shown]
	v_fmac_f32_e32 v15, 0x3f6c835e, v60
	v_fmac_f32_e32 v14, 0x3f6c835e, v64
	;; [unrolled: 1-line block ×4, first 2 shown]
	v_sub_f32_e32 v37, v41, v37
	v_sub_f32_e32 v36, v40, v36
	v_fmac_f32_e32 v15, 0xbec3ef15, v64
	v_fmac_f32_e32 v14, 0x3ec3ef15, v60
	;; [unrolled: 1-line block ×4, first 2 shown]
	v_sub_f32_e32 v21, v75, v76
	v_fma_f32 v42, v52, 2.0, -v38
	v_fma_f32 v41, v41, 2.0, -v37
	v_fma_f32 v40, v40, 2.0, -v36
	v_add_lshl_u32 v48, v48, v51, 3
	v_fma_f32 v19, v55, 2.0, -v15
	v_fma_f32 v18, v66, 2.0, -v14
	;; [unrolled: 1-line block ×7, first 2 shown]
	ds_write_b128 v48, v[40:43]
	ds_write_b128 v48, v[32:35] offset:16
	ds_write_b128 v48, v[24:27] offset:32
	;; [unrolled: 1-line block ×7, first 2 shown]
.LBB0_13:
	s_or_b64 exec, exec, s[4:5]
	s_waitcnt lgkmcnt(0)
	s_barrier
	ds_read2_b64 v[12:15], v50 offset1:16
	ds_read2_b64 v[16:19], v50 offset0:32 offset1:48
	ds_read2_b64 v[20:23], v50 offset0:64 offset1:80
	ds_read_b64 v[24:25], v50 offset:768
	s_mov_b32 s5, 0x3f3bfb3b
	s_waitcnt lgkmcnt(3)
	v_mul_f32_e32 v26, v9, v15
	v_mul_f32_e32 v9, v9, v14
	v_fmac_f32_e32 v26, v8, v14
	v_fma_f32 v8, v8, v15, -v9
	s_waitcnt lgkmcnt(2)
	v_mul_f32_e32 v9, v11, v17
	v_mul_f32_e32 v11, v11, v16
	v_fmac_f32_e32 v9, v10, v16
	v_fma_f32 v10, v10, v17, -v11
	v_mul_f32_e32 v11, v5, v19
	v_mul_f32_e32 v5, v5, v18
	v_fmac_f32_e32 v11, v4, v18
	v_fma_f32 v4, v4, v19, -v5
	s_waitcnt lgkmcnt(1)
	v_mul_f32_e32 v5, v7, v21
	v_mul_f32_e32 v7, v7, v20
	v_fmac_f32_e32 v5, v6, v20
	v_fma_f32 v6, v6, v21, -v7
	;; [unrolled: 9-line block ×3, first 2 shown]
	v_add_f32_e32 v3, v26, v1
	v_add_f32_e32 v14, v8, v2
	v_sub_f32_e32 v2, v8, v2
	v_add_f32_e32 v8, v9, v7
	v_add_f32_e32 v15, v10, v0
	v_sub_f32_e32 v7, v9, v7
	v_sub_f32_e32 v0, v10, v0
	v_add_f32_e32 v9, v11, v5
	v_add_f32_e32 v10, v4, v6
	v_sub_f32_e32 v4, v6, v4
	v_add_f32_e32 v6, v8, v3
	v_sub_f32_e32 v5, v5, v11
	v_add_f32_e32 v11, v15, v14
	v_add_f32_e32 v6, v9, v6
	v_sub_f32_e32 v1, v26, v1
	v_sub_f32_e32 v16, v8, v3
	;; [unrolled: 1-line block ×4, first 2 shown]
	v_add_f32_e32 v18, v5, v7
	v_add_f32_e32 v19, v4, v0
	v_sub_f32_e32 v21, v4, v0
	v_sub_f32_e32 v22, v0, v2
	v_add_f32_e32 v9, v10, v11
	v_add_f32_e32 v0, v12, v6
	v_sub_f32_e32 v17, v15, v14
	v_sub_f32_e32 v14, v14, v10
	;; [unrolled: 1-line block ×6, first 2 shown]
	v_add_f32_e32 v10, v18, v1
	v_add_f32_e32 v1, v13, v9
	v_mul_f32_e32 v18, 0x3f08b237, v21
	v_mov_b32_e32 v21, v0
	v_mul_f32_e32 v12, 0x3d64c772, v8
	v_mul_f32_e32 v13, 0x3d64c772, v15
	v_fmac_f32_e32 v21, 0xbf955555, v6
	v_mov_b32_e32 v6, v1
	v_mul_f32_e32 v3, 0x3f4a47b2, v3
	v_mul_f32_e32 v11, 0x3f4a47b2, v14
	v_mul_f32_e32 v14, 0x3f08b237, v20
	s_mov_b32 s4, 0xbf5ff5aa
	v_fmac_f32_e32 v6, 0xbf955555, v9
	v_fma_f32 v9, v16, s5, -v12
	v_fma_f32 v12, v17, s5, -v13
	s_mov_b32 s5, 0xbf3bfb3b
	v_sub_f32_e32 v4, v2, v4
	v_add_f32_e32 v2, v19, v2
	v_mul_f32_e32 v19, 0xbf5ff5aa, v7
	v_mul_f32_e32 v20, 0xbf5ff5aa, v22
	v_fma_f32 v13, v16, s5, -v3
	v_fmac_f32_e32 v3, 0x3d64c772, v8
	v_fma_f32 v8, v17, s5, -v11
	v_fmac_f32_e32 v11, 0x3d64c772, v15
	v_fma_f32 v15, v7, s4, -v14
	v_fma_f32 v16, v22, s4, -v18
	s_mov_b32 s4, 0x3eae86e6
	v_fmac_f32_e32 v14, 0xbeae86e6, v5
	v_fmac_f32_e32 v18, 0xbeae86e6, v4
	v_fma_f32 v17, v5, s4, -v19
	v_fma_f32 v19, v4, s4, -v20
	v_add_f32_e32 v20, v3, v21
	v_add_f32_e32 v22, v11, v6
	;; [unrolled: 1-line block ×6, first 2 shown]
	v_fmac_f32_e32 v14, 0xbee1c552, v10
	v_fmac_f32_e32 v18, 0xbee1c552, v2
	;; [unrolled: 1-line block ×6, first 2 shown]
	v_add_f32_e32 v2, v18, v20
	v_sub_f32_e32 v3, v22, v14
	v_add_f32_e32 v4, v19, v12
	v_sub_f32_e32 v5, v13, v17
	v_sub_f32_e32 v6, v9, v16
	v_add_f32_e32 v7, v15, v11
	v_add_f32_e32 v8, v16, v9
	v_sub_f32_e32 v9, v11, v15
	v_sub_f32_e32 v10, v12, v19
	v_add_f32_e32 v11, v17, v13
	v_sub_f32_e32 v12, v20, v18
	v_add_f32_e32 v13, v14, v22
	ds_write_b64 v50, v[0:1]
	ds_write2_b64 v49, v[2:3], v[4:5] offset0:16 offset1:32
	ds_write2_b64 v49, v[6:7], v[8:9] offset0:48 offset1:64
	;; [unrolled: 1-line block ×3, first 2 shown]
	s_waitcnt lgkmcnt(0)
	s_barrier
	s_and_b64 exec, exec, vcc
	s_cbranch_execz .LBB0_15
; %bb.14:
	global_load_dwordx2 v[8:9], v45, s[6:7]
	global_load_dwordx2 v[10:11], v45, s[6:7] offset:56
	global_load_dwordx2 v[12:13], v45, s[6:7] offset:112
	;; [unrolled: 1-line block ×4, first 2 shown]
	ds_read2_b64 v[0:3], v49 offset0:7 offset1:14
	ds_read2_b64 v[4:7], v49 offset0:21 offset1:28
	global_load_dwordx2 v[22:23], v45, s[6:7] offset:280
	global_load_dwordx2 v[24:25], v45, s[6:7] offset:336
	;; [unrolled: 1-line block ×4, first 2 shown]
	v_mad_u64_u32 v[18:19], s[4:5], s2, v44, 0
	v_mad_u64_u32 v[20:21], s[8:9], s0, v47, 0
	v_mov_b32_e32 v37, s13
	s_mul_i32 s8, s1, 56
	v_mad_u64_u32 v[34:35], s[10:11], s3, v44, v[19:20]
	s_mul_hi_u32 s9, s0, 56
	ds_read_b64 v[30:31], v50
	ds_read_b64 v[32:33], v49 offset:840
	v_mov_b32_e32 v19, v34
	v_lshlrev_b64 v[18:19], 3, v[18:19]
	s_mul_i32 s2, s0, 56
	v_add_co_u32_e32 v39, vcc, s12, v18
	v_addc_co_u32_e32 v37, vcc, v37, v19, vcc
	s_add_i32 s8, s9, s8
	v_mov_b32_e32 v38, s8
	s_mov_b32 s4, 0x92492492
	s_mov_b32 s5, 0x3f824924
	s_waitcnt vmcnt(6) lgkmcnt(3)
	v_mul_f32_e32 v40, v3, v13
	v_mul_f32_e32 v13, v2, v13
	s_waitcnt vmcnt(3)
	v_mad_u64_u32 v[35:36], s[10:11], s1, v47, v[21:22]
	v_mov_b32_e32 v36, s8
	s_waitcnt lgkmcnt(2)
	v_mul_f32_e32 v41, v5, v15
	v_mov_b32_e32 v21, v35
	v_lshlrev_b64 v[20:21], 3, v[20:21]
	v_mul_f32_e32 v15, v4, v15
	v_add_co_u32_e32 v18, vcc, v39, v20
	v_addc_co_u32_e32 v19, vcc, v37, v21, vcc
	v_add_co_u32_e32 v20, vcc, s2, v18
	v_addc_co_u32_e32 v21, vcc, v19, v36, vcc
	v_add_co_u32_e32 v34, vcc, s2, v20
	s_waitcnt lgkmcnt(1)
	v_mul_f32_e32 v36, v31, v9
	v_mul_f32_e32 v9, v30, v9
	v_addc_co_u32_e32 v35, vcc, v21, v38, vcc
	v_mul_f32_e32 v38, v1, v11
	v_mul_f32_e32 v11, v0, v11
	v_fmac_f32_e32 v36, v30, v8
	v_fma_f32 v8, v8, v31, -v9
	v_mul_f32_e32 v42, v7, v17
	v_mul_f32_e32 v17, v6, v17
	v_fmac_f32_e32 v38, v0, v10
	v_fma_f32 v9, v10, v1, -v11
	v_fmac_f32_e32 v40, v2, v12
	v_fma_f32 v10, v12, v3, -v13
	v_cvt_f64_f32_e32 v[0:1], v36
	v_cvt_f64_f32_e32 v[2:3], v8
	v_fmac_f32_e32 v41, v4, v14
	v_fma_f32 v14, v14, v5, -v15
	v_fmac_f32_e32 v42, v6, v16
	v_fma_f32 v30, v16, v7, -v17
	v_cvt_f64_f32_e32 v[4:5], v38
	v_cvt_f64_f32_e32 v[6:7], v9
	;; [unrolled: 1-line block ×4, first 2 shown]
	v_mul_f64 v[0:1], v[0:1], s[4:5]
	v_mul_f64 v[2:3], v[2:3], s[4:5]
	;; [unrolled: 1-line block ×6, first 2 shown]
	v_cvt_f64_f32_e32 v[12:13], v41
	v_cvt_f64_f32_e32 v[14:15], v14
	v_cvt_f32_f64_e32 v0, v[0:1]
	v_cvt_f32_f64_e32 v1, v[2:3]
	v_mul_f64 v[12:13], v[12:13], s[4:5]
	v_mul_f64 v[14:15], v[14:15], s[4:5]
	v_cvt_f32_f64_e32 v2, v[4:5]
	v_cvt_f32_f64_e32 v3, v[6:7]
	;; [unrolled: 1-line block ×4, first 2 shown]
	global_store_dwordx2 v[18:19], v[0:1], off
	global_store_dwordx2 v[20:21], v[2:3], off
	;; [unrolled: 1-line block ×3, first 2 shown]
	v_cvt_f64_f32_e32 v[0:1], v30
	v_cvt_f64_f32_e32 v[16:17], v42
	v_cvt_f32_f64_e32 v6, v[12:13]
	v_cvt_f32_f64_e32 v7, v[14:15]
	v_mul_f64 v[8:9], v[0:1], s[4:5]
	ds_read2_b64 v[0:3], v49 offset0:35 offset1:42
	v_mul_f64 v[4:5], v[16:17], s[4:5]
	v_mov_b32_e32 v11, s8
	v_add_co_u32_e32 v10, vcc, s2, v34
	global_load_dwordx2 v[12:13], v45, s[6:7] offset:504
	v_addc_co_u32_e32 v11, vcc, v35, v11, vcc
	global_store_dwordx2 v[10:11], v[6:7], off
	s_waitcnt lgkmcnt(0)
	v_mul_f32_e32 v6, v1, v23
	v_fmac_f32_e32 v6, v0, v22
	v_cvt_f64_f32_e32 v[6:7], v6
	v_cvt_f32_f64_e32 v4, v[4:5]
	v_cvt_f32_f64_e32 v5, v[8:9]
	global_load_dwordx2 v[8:9], v45, s[6:7] offset:560
	global_load_dwordx2 v[16:17], v45, s[6:7] offset:616
	v_mul_f64 v[6:7], v[6:7], s[4:5]
	v_mov_b32_e32 v14, s8
	v_add_co_u32_e32 v10, vcc, s2, v10
	v_addc_co_u32_e32 v11, vcc, v11, v14, vcc
	global_store_dwordx2 v[10:11], v[4:5], off
	s_waitcnt vmcnt(10)
	v_mul_f32_e32 v5, v3, v25
	v_fmac_f32_e32 v5, v2, v24
	v_mul_f32_e32 v2, v2, v25
	v_fma_f32 v2, v24, v3, -v2
	v_cvt_f32_f64_e32 v4, v[6:7]
	v_cvt_f64_f32_e32 v[6:7], v5
	v_cvt_f64_f32_e32 v[2:3], v2
	v_mul_f32_e32 v0, v0, v23
	v_fma_f32 v0, v22, v1, -v0
	v_mul_f64 v[6:7], v[6:7], s[4:5]
	v_mul_f64 v[14:15], v[2:3], s[4:5]
	v_cvt_f64_f32_e32 v[0:1], v0
	v_mov_b32_e32 v18, s8
	v_add_co_u32_e32 v10, vcc, s2, v10
	v_mul_f64 v[0:1], v[0:1], s[4:5]
	v_addc_co_u32_e32 v11, vcc, v11, v18, vcc
	v_cvt_f32_f64_e32 v6, v[6:7]
	v_cvt_f32_f64_e32 v7, v[14:15]
	global_load_dwordx2 v[14:15], v45, s[6:7] offset:672
	v_mad_u64_u32 v[20:21], s[10:11], s0, v46, 0
	v_cvt_f32_f64_e32 v5, v[0:1]
	ds_read2_b64 v[0:3], v49 offset0:49 offset1:56
	global_store_dwordx2 v[10:11], v[4:5], off
	v_add_co_u32_e32 v10, vcc, s2, v10
	s_waitcnt vmcnt(11) lgkmcnt(0)
	v_mul_f32_e32 v4, v1, v27
	v_fmac_f32_e32 v4, v0, v26
	v_cvt_f64_f32_e32 v[4:5], v4
	v_mul_f32_e32 v0, v0, v27
	v_fma_f32 v0, v26, v1, -v0
	v_cvt_f64_f32_e32 v[0:1], v0
	v_mul_f64 v[4:5], v[4:5], s[4:5]
	v_addc_co_u32_e32 v11, vcc, v11, v18, vcc
	v_mul_f64 v[0:1], v[0:1], s[4:5]
	global_store_dwordx2 v[10:11], v[6:7], off
	v_add_co_u32_e32 v10, vcc, s2, v10
	v_cvt_f32_f64_e32 v4, v[4:5]
	s_waitcnt vmcnt(11)
	v_mul_f32_e32 v5, v3, v29
	v_fmac_f32_e32 v5, v2, v28
	v_mul_f32_e32 v2, v2, v29
	v_fma_f32 v2, v28, v3, -v2
	v_cvt_f64_f32_e32 v[6:7], v5
	v_cvt_f64_f32_e32 v[2:3], v2
	v_cvt_f32_f64_e32 v5, v[0:1]
	v_mov_b32_e32 v0, s8
	v_mul_f64 v[6:7], v[6:7], s[4:5]
	v_mul_f64 v[18:19], v[2:3], s[4:5]
	v_addc_co_u32_e32 v11, vcc, v11, v0, vcc
	v_mov_b32_e32 v0, v21
	global_store_dwordx2 v[10:11], v[4:5], off
	v_mad_u64_u32 v[4:5], s[10:11], s1, v46, v[0:1]
	ds_read2_b64 v[0:3], v49 offset0:63 offset1:70
	v_cvt_f32_f64_e32 v5, v[6:7]
	v_mov_b32_e32 v21, v4
	v_cvt_f32_f64_e32 v6, v[18:19]
	v_lshlrev_b64 v[18:19], 3, v[20:21]
	s_waitcnt vmcnt(8) lgkmcnt(0)
	v_mul_f32_e32 v4, v1, v13
	v_fmac_f32_e32 v4, v0, v12
	v_mul_f32_e32 v0, v0, v13
	v_fma_f32 v0, v12, v1, -v0
	v_cvt_f64_f32_e32 v[20:21], v4
	v_cvt_f64_f32_e32 v[0:1], v0
	v_add_co_u32_e32 v12, vcc, v39, v18
	v_addc_co_u32_e32 v13, vcc, v37, v19, vcc
	global_store_dwordx2 v[12:13], v[5:6], off
	s_waitcnt vmcnt(7)
	v_mul_f32_e32 v6, v3, v9
	v_mul_f64 v[4:5], v[20:21], s[4:5]
	v_mul_f64 v[0:1], v[0:1], s[4:5]
	v_fmac_f32_e32 v6, v2, v8
	v_cvt_f64_f32_e32 v[6:7], v6
	v_mul_f32_e32 v2, v2, v9
	v_fma_f32 v2, v8, v3, -v2
	v_cvt_f64_f32_e32 v[2:3], v2
	v_mul_f64 v[6:7], v[6:7], s[4:5]
	v_mov_b32_e32 v12, 0x70
	v_mad_u64_u32 v[8:9], s[10:11], s0, v12, v[10:11]
	v_mul_f64 v[10:11], v[2:3], s[4:5]
	v_cvt_f32_f64_e32 v4, v[4:5]
	v_cvt_f32_f64_e32 v5, v[0:1]
	ds_read2_b64 v[0:3], v49 offset0:77 offset1:84
	s_mul_i32 s0, s1, 0x70
	v_add_u32_e32 v9, s0, v9
	global_store_dwordx2 v[8:9], v[4:5], off
	v_cvt_f32_f64_e32 v4, v[6:7]
	s_waitcnt vmcnt(7) lgkmcnt(0)
	v_mul_f32_e32 v6, v1, v17
	v_fmac_f32_e32 v6, v0, v16
	v_mul_f32_e32 v0, v0, v17
	v_fma_f32 v0, v16, v1, -v0
	v_cvt_f32_f64_e32 v5, v[10:11]
	v_cvt_f64_f32_e32 v[6:7], v6
	v_cvt_f64_f32_e32 v[0:1], v0
	v_mov_b32_e32 v10, s8
	v_add_co_u32_e32 v8, vcc, s2, v8
	v_addc_co_u32_e32 v9, vcc, v9, v10, vcc
	global_store_dwordx2 v[8:9], v[4:5], off
	v_mul_f64 v[4:5], v[6:7], s[4:5]
	v_mul_f64 v[0:1], v[0:1], s[4:5]
	s_waitcnt vmcnt(6)
	v_mul_f32_e32 v6, v3, v15
	v_fmac_f32_e32 v6, v2, v14
	v_mul_f32_e32 v2, v2, v15
	v_fma_f32 v2, v14, v3, -v2
	v_cvt_f64_f32_e32 v[6:7], v6
	v_cvt_f64_f32_e32 v[2:3], v2
	v_cvt_f32_f64_e32 v4, v[4:5]
	v_cvt_f32_f64_e32 v5, v[0:1]
	v_mul_f64 v[0:1], v[6:7], s[4:5]
	v_mul_f64 v[2:3], v[2:3], s[4:5]
	v_mov_b32_e32 v7, s8
	v_add_co_u32_e32 v6, vcc, s2, v8
	v_addc_co_u32_e32 v7, vcc, v9, v7, vcc
	global_store_dwordx2 v[6:7], v[4:5], off
	v_cvt_f32_f64_e32 v0, v[0:1]
	v_cvt_f32_f64_e32 v1, v[2:3]
	v_mov_b32_e32 v2, s8
	v_add_co_u32_e32 v4, vcc, s2, v6
	v_addc_co_u32_e32 v5, vcc, v7, v2, vcc
	global_store_dwordx2 v[4:5], v[0:1], off
	global_load_dwordx2 v[6:7], v45, s[6:7] offset:728
	ds_read2_b64 v[0:3], v49 offset0:91 offset1:98
	s_waitcnt vmcnt(0) lgkmcnt(0)
	v_mul_f32_e32 v8, v1, v7
	v_fmac_f32_e32 v8, v0, v6
	v_mul_f32_e32 v0, v0, v7
	v_fma_f32 v0, v6, v1, -v0
	v_cvt_f64_f32_e32 v[8:9], v8
	v_cvt_f64_f32_e32 v[0:1], v0
	v_mul_f64 v[6:7], v[8:9], s[4:5]
	v_mul_f64 v[0:1], v[0:1], s[4:5]
	v_cvt_f32_f64_e32 v6, v[6:7]
	v_cvt_f32_f64_e32 v7, v[0:1]
	v_mov_b32_e32 v1, s8
	v_add_co_u32_e32 v0, vcc, s2, v4
	v_addc_co_u32_e32 v1, vcc, v5, v1, vcc
	global_store_dwordx2 v[0:1], v[6:7], off
	global_load_dwordx2 v[4:5], v45, s[6:7] offset:784
	v_add_co_u32_e32 v0, vcc, s2, v0
	s_waitcnt vmcnt(0)
	v_mul_f32_e32 v6, v3, v5
	v_fmac_f32_e32 v6, v2, v4
	v_mul_f32_e32 v2, v2, v5
	v_fma_f32 v2, v4, v3, -v2
	v_cvt_f64_f32_e32 v[6:7], v6
	v_cvt_f64_f32_e32 v[2:3], v2
	v_mul_f64 v[4:5], v[6:7], s[4:5]
	v_mul_f64 v[2:3], v[2:3], s[4:5]
	v_mov_b32_e32 v6, s8
	v_addc_co_u32_e32 v1, vcc, v1, v6, vcc
	v_cvt_f32_f64_e32 v4, v[4:5]
	v_cvt_f32_f64_e32 v5, v[2:3]
	global_store_dwordx2 v[0:1], v[4:5], off
	global_load_dwordx2 v[2:3], v45, s[6:7] offset:840
	v_add_co_u32_e32 v0, vcc, s2, v0
	v_addc_co_u32_e32 v1, vcc, v1, v6, vcc
	s_waitcnt vmcnt(0)
	v_mul_f32_e32 v4, v33, v3
	v_mul_f32_e32 v3, v32, v3
	v_fmac_f32_e32 v4, v32, v2
	v_fma_f32 v5, v2, v33, -v3
	v_cvt_f64_f32_e32 v[2:3], v4
	v_cvt_f64_f32_e32 v[4:5], v5
	v_mul_f64 v[2:3], v[2:3], s[4:5]
	v_mul_f64 v[4:5], v[4:5], s[4:5]
	v_cvt_f32_f64_e32 v2, v[2:3]
	v_cvt_f32_f64_e32 v3, v[4:5]
	global_store_dwordx2 v[0:1], v[2:3], off
.LBB0_15:
	s_endpgm
	.section	.rodata,"a",@progbits
	.p2align	6, 0x0
	.amdhsa_kernel bluestein_single_back_len112_dim1_sp_op_CI_CI
		.amdhsa_group_segment_fixed_size 14336
		.amdhsa_private_segment_fixed_size 0
		.amdhsa_kernarg_size 104
		.amdhsa_user_sgpr_count 6
		.amdhsa_user_sgpr_private_segment_buffer 1
		.amdhsa_user_sgpr_dispatch_ptr 0
		.amdhsa_user_sgpr_queue_ptr 0
		.amdhsa_user_sgpr_kernarg_segment_ptr 1
		.amdhsa_user_sgpr_dispatch_id 0
		.amdhsa_user_sgpr_flat_scratch_init 0
		.amdhsa_user_sgpr_private_segment_size 0
		.amdhsa_uses_dynamic_stack 0
		.amdhsa_system_sgpr_private_segment_wavefront_offset 0
		.amdhsa_system_sgpr_workgroup_id_x 1
		.amdhsa_system_sgpr_workgroup_id_y 0
		.amdhsa_system_sgpr_workgroup_id_z 0
		.amdhsa_system_sgpr_workgroup_info 0
		.amdhsa_system_vgpr_workitem_id 0
		.amdhsa_next_free_vgpr 78
		.amdhsa_next_free_sgpr 16
		.amdhsa_reserve_vcc 1
		.amdhsa_reserve_flat_scratch 0
		.amdhsa_float_round_mode_32 0
		.amdhsa_float_round_mode_16_64 0
		.amdhsa_float_denorm_mode_32 3
		.amdhsa_float_denorm_mode_16_64 3
		.amdhsa_dx10_clamp 1
		.amdhsa_ieee_mode 1
		.amdhsa_fp16_overflow 0
		.amdhsa_exception_fp_ieee_invalid_op 0
		.amdhsa_exception_fp_denorm_src 0
		.amdhsa_exception_fp_ieee_div_zero 0
		.amdhsa_exception_fp_ieee_overflow 0
		.amdhsa_exception_fp_ieee_underflow 0
		.amdhsa_exception_fp_ieee_inexact 0
		.amdhsa_exception_int_div_zero 0
	.end_amdhsa_kernel
	.text
.Lfunc_end0:
	.size	bluestein_single_back_len112_dim1_sp_op_CI_CI, .Lfunc_end0-bluestein_single_back_len112_dim1_sp_op_CI_CI
                                        ; -- End function
	.section	.AMDGPU.csdata,"",@progbits
; Kernel info:
; codeLenInByte = 7580
; NumSgprs: 20
; NumVgprs: 78
; ScratchSize: 0
; MemoryBound: 0
; FloatMode: 240
; IeeeMode: 1
; LDSByteSize: 14336 bytes/workgroup (compile time only)
; SGPRBlocks: 2
; VGPRBlocks: 19
; NumSGPRsForWavesPerEU: 20
; NumVGPRsForWavesPerEU: 78
; Occupancy: 3
; WaveLimiterHint : 1
; COMPUTE_PGM_RSRC2:SCRATCH_EN: 0
; COMPUTE_PGM_RSRC2:USER_SGPR: 6
; COMPUTE_PGM_RSRC2:TRAP_HANDLER: 0
; COMPUTE_PGM_RSRC2:TGID_X_EN: 1
; COMPUTE_PGM_RSRC2:TGID_Y_EN: 0
; COMPUTE_PGM_RSRC2:TGID_Z_EN: 0
; COMPUTE_PGM_RSRC2:TIDIG_COMP_CNT: 0
	.type	__hip_cuid_cfa3ea5108ab63a9,@object ; @__hip_cuid_cfa3ea5108ab63a9
	.section	.bss,"aw",@nobits
	.globl	__hip_cuid_cfa3ea5108ab63a9
__hip_cuid_cfa3ea5108ab63a9:
	.byte	0                               ; 0x0
	.size	__hip_cuid_cfa3ea5108ab63a9, 1

	.ident	"AMD clang version 19.0.0git (https://github.com/RadeonOpenCompute/llvm-project roc-6.4.0 25133 c7fe45cf4b819c5991fe208aaa96edf142730f1d)"
	.section	".note.GNU-stack","",@progbits
	.addrsig
	.addrsig_sym __hip_cuid_cfa3ea5108ab63a9
	.amdgpu_metadata
---
amdhsa.kernels:
  - .args:
      - .actual_access:  read_only
        .address_space:  global
        .offset:         0
        .size:           8
        .value_kind:     global_buffer
      - .actual_access:  read_only
        .address_space:  global
        .offset:         8
        .size:           8
        .value_kind:     global_buffer
      - .actual_access:  read_only
        .address_space:  global
        .offset:         16
        .size:           8
        .value_kind:     global_buffer
      - .actual_access:  read_only
        .address_space:  global
        .offset:         24
        .size:           8
        .value_kind:     global_buffer
      - .actual_access:  read_only
        .address_space:  global
        .offset:         32
        .size:           8
        .value_kind:     global_buffer
      - .offset:         40
        .size:           8
        .value_kind:     by_value
      - .address_space:  global
        .offset:         48
        .size:           8
        .value_kind:     global_buffer
      - .address_space:  global
        .offset:         56
        .size:           8
        .value_kind:     global_buffer
      - .address_space:  global
        .offset:         64
        .size:           8
        .value_kind:     global_buffer
      - .address_space:  global
        .offset:         72
        .size:           8
        .value_kind:     global_buffer
      - .offset:         80
        .size:           4
        .value_kind:     by_value
      - .address_space:  global
        .offset:         88
        .size:           8
        .value_kind:     global_buffer
      - .address_space:  global
        .offset:         96
        .size:           8
        .value_kind:     global_buffer
    .group_segment_fixed_size: 14336
    .kernarg_segment_align: 8
    .kernarg_segment_size: 104
    .language:       OpenCL C
    .language_version:
      - 2
      - 0
    .max_flat_workgroup_size: 256
    .name:           bluestein_single_back_len112_dim1_sp_op_CI_CI
    .private_segment_fixed_size: 0
    .sgpr_count:     20
    .sgpr_spill_count: 0
    .symbol:         bluestein_single_back_len112_dim1_sp_op_CI_CI.kd
    .uniform_work_group_size: 1
    .uses_dynamic_stack: false
    .vgpr_count:     78
    .vgpr_spill_count: 0
    .wavefront_size: 64
amdhsa.target:   amdgcn-amd-amdhsa--gfx906
amdhsa.version:
  - 1
  - 2
...

	.end_amdgpu_metadata
